;; amdgpu-corpus repo=ROCm/rocFFT kind=compiled arch=gfx950 opt=O3
	.text
	.amdgcn_target "amdgcn-amd-amdhsa--gfx950"
	.amdhsa_code_object_version 6
	.protected	fft_rtc_back_len104_factors_2_13_2_2_wgs_208_tpt_26_halfLds_dim2_sp_ip_CI_sbcc_twdbase8_2step_dirReg ; -- Begin function fft_rtc_back_len104_factors_2_13_2_2_wgs_208_tpt_26_halfLds_dim2_sp_ip_CI_sbcc_twdbase8_2step_dirReg
	.globl	fft_rtc_back_len104_factors_2_13_2_2_wgs_208_tpt_26_halfLds_dim2_sp_ip_CI_sbcc_twdbase8_2step_dirReg
	.p2align	8
	.type	fft_rtc_back_len104_factors_2_13_2_2_wgs_208_tpt_26_halfLds_dim2_sp_ip_CI_sbcc_twdbase8_2step_dirReg,@function
fft_rtc_back_len104_factors_2_13_2_2_wgs_208_tpt_26_halfLds_dim2_sp_ip_CI_sbcc_twdbase8_2step_dirReg: ; @fft_rtc_back_len104_factors_2_13_2_2_wgs_208_tpt_26_halfLds_dim2_sp_ip_CI_sbcc_twdbase8_2step_dirReg
; %bb.0:
	s_load_dwordx4 s[4:7], s[0:1], 0x10
	s_mov_b32 s3, 0
	s_mov_b64 s[14:15], -1
	s_mov_b64 s[16:17], 0
	s_waitcnt lgkmcnt(0)
	s_load_dwordx2 s[12:13], s[4:5], 0x8
	s_load_dwordx2 s[10:11], s[0:1], 0x50
	;; [unrolled: 1-line block ×3, first 2 shown]
	s_waitcnt lgkmcnt(0)
	s_add_u32 s4, s12, -1
	s_addc_u32 s5, s13, -1
	s_lshr_b64 s[4:5], s[4:5], 3
	s_add_u32 s4, s4, 1
	s_addc_u32 s5, s5, 0
	v_mov_b64_e32 v[2:3], s[4:5]
	v_cmp_lt_u64_e32 vcc, s[2:3], v[2:3]
	s_cbranch_vccnz .LBB0_2
; %bb.1:
	v_cvt_f32_u32_e32 v1, s4
	s_sub_i32 s3, 0, s4
	v_rcp_iflag_f32_e32 v1, v1
	s_nop 0
	v_mul_f32_e32 v1, 0x4f7ffffe, v1
	v_cvt_u32_f32_e32 v1, v1
	s_nop 0
	v_readfirstlane_b32 s16, v1
	s_mul_i32 s3, s3, s16
	s_mul_hi_u32 s3, s16, s3
	s_add_i32 s16, s16, s3
	s_mul_hi_u32 s3, s2, s16
	s_mul_i32 s17, s3, s4
	s_sub_i32 s17, s2, s17
	s_add_i32 s16, s3, 1
	s_sub_i32 s18, s17, s4
	s_cmp_ge_u32 s17, s4
	s_cselect_b32 s3, s16, s3
	s_cselect_b32 s17, s18, s17
	s_add_i32 s16, s3, 1
	s_cmp_ge_u32 s17, s4
	s_cselect_b32 s16, s16, s3
.LBB0_2:
	s_mul_i32 s3, s16, s5
	s_mul_hi_u32 s5, s16, s4
	s_add_i32 s5, s5, s3
	s_mul_i32 s3, s16, s4
	s_sub_u32 s2, s2, s3
	s_subb_u32 s3, 0, s5
	s_load_dwordx4 s[4:7], s[6:7], 0x8
	v_mov_b32_e32 v1, s2
	s_lshl_b64 s[18:19], s[2:3], 3
	v_alignbit_b32 v1, s3, v1, 29
	v_mov_b64_e32 v[4:5], s[12:13]
	v_readfirstlane_b32 s2, v1
	s_waitcnt lgkmcnt(0)
	s_mul_i32 s3, s18, s5
	s_mul_hi_u32 s17, s18, s4
	s_mul_i32 s2, s2, s4
	s_add_i32 s3, s17, s3
	s_mul_i32 s7, s7, s16
	s_mul_hi_u32 s17, s6, s16
	s_add_i32 s3, s3, s2
	s_mul_i32 s2, s18, s4
	s_add_i32 s17, s17, s7
	s_mul_i32 s6, s6, s16
	s_add_u32 s6, s6, s2
	s_addc_u32 s7, s17, s3
	s_add_u32 s16, s18, 8
	s_addc_u32 s17, s19, 0
	v_and_b32_e32 v32, 7, v0
	v_cmp_gt_u64_e32 vcc, s[16:17], v[4:5]
	v_or_b32_e32 v2, s18, v32
	v_mov_b32_e32 v3, s19
	v_cmp_le_u64_e64 s[2:3], s[16:17], v[4:5]
	v_lshrrev_b32_e32 v1, 3, v0
	s_cbranch_vccz .LBB0_8
; %bb.3:
	v_cmp_le_u64_e32 vcc, s[12:13], v[2:3]
                                        ; implicit-def: $vgpr33
	s_and_saveexec_b64 s[14:15], vcc
	s_xor_b64 s[14:15], exec, s[14:15]
; %bb.4:
	v_add_u32_e32 v33, 26, v1
; %bb.5:
	s_or_saveexec_b64 s[14:15], s[14:15]
                                        ; implicit-def: $vgpr7
                                        ; implicit-def: $vgpr19
                                        ; implicit-def: $vgpr25
                                        ; implicit-def: $vgpr23
	s_xor_b64 exec, exec, s[14:15]
	s_cbranch_execz .LBB0_7
; %bb.6:
	v_mad_u64_u32 v[4:5], s[16:17], s4, v32, 0
	v_mov_b32_e32 v6, v5
	v_mad_u64_u32 v[6:7], s[16:17], s5, v32, v[6:7]
	v_mov_b32_e32 v5, v6
	;; [unrolled: 2-line block ×3, first 2 shown]
	v_mad_u64_u32 v[8:9], s[16:17], s9, v1, v[8:9]
	s_lshl_b64 s[16:17], s[6:7], 3
	s_add_u32 s16, s10, s16
	s_addc_u32 s17, s11, s17
	v_mov_b32_e32 v7, v8
	v_lshl_add_u64 v[4:5], v[4:5], 3, s[16:17]
	v_add_u32_e32 v11, 52, v1
	v_lshl_add_u64 v[8:9], v[6:7], 3, v[4:5]
	v_mad_u64_u32 v[6:7], s[16:17], s8, v11, 0
	v_mov_b32_e32 v10, v7
	v_mad_u64_u32 v[10:11], s[16:17], s9, v11, v[10:11]
	v_mov_b32_e32 v7, v10
	v_add_u32_e32 v33, 26, v1
	v_lshl_add_u64 v[10:11], v[6:7], 3, v[4:5]
	v_mad_u64_u32 v[6:7], s[16:17], s8, v33, 0
	v_mov_b32_e32 v12, v7
	v_mad_u64_u32 v[12:13], s[16:17], s9, v33, v[12:13]
	v_mov_b32_e32 v7, v12
	;; [unrolled: 6-line block ×3, first 2 shown]
	v_lshl_add_u64 v[4:5], v[6:7], 3, v[4:5]
	global_load_dwordx2 v[22:23], v[8:9], off
	global_load_dwordx2 v[24:25], v[10:11], off
	;; [unrolled: 1-line block ×4, first 2 shown]
.LBB0_7:
	s_or_b64 exec, exec, s[14:15]
	s_cbranch_execz .LBB0_9
	s_branch .LBB0_10
.LBB0_8:
                                        ; implicit-def: $vgpr7
                                        ; implicit-def: $vgpr19
                                        ; implicit-def: $vgpr25
                                        ; implicit-def: $vgpr23
                                        ; implicit-def: $vgpr33
	s_andn2_b64 vcc, exec, s[14:15]
	s_cbranch_vccnz .LBB0_10
.LBB0_9:
	v_mad_u64_u32 v[4:5], s[14:15], s4, v32, 0
	s_waitcnt vmcnt(0)
	v_mov_b32_e32 v6, v5
	v_mad_u64_u32 v[6:7], s[14:15], s5, v32, v[6:7]
	v_mov_b32_e32 v5, v6
	v_mad_u64_u32 v[6:7], s[14:15], s8, v1, 0
	;; [unrolled: 2-line block ×3, first 2 shown]
	s_lshl_b64 s[14:15], s[6:7], 3
	s_add_u32 s14, s10, s14
	s_addc_u32 s15, s11, s15
	v_mov_b32_e32 v7, v8
	v_lshl_add_u64 v[4:5], v[4:5], 3, s[14:15]
	v_add_u32_e32 v11, 52, v1
	v_lshl_add_u64 v[8:9], v[6:7], 3, v[4:5]
	v_mad_u64_u32 v[6:7], s[14:15], s8, v11, 0
	v_mov_b32_e32 v10, v7
	v_mad_u64_u32 v[10:11], s[14:15], s9, v11, v[10:11]
	v_mov_b32_e32 v7, v10
	v_add_u32_e32 v33, 26, v1
	v_lshl_add_u64 v[10:11], v[6:7], 3, v[4:5]
	v_mad_u64_u32 v[6:7], s[14:15], s8, v33, 0
	v_mov_b32_e32 v12, v7
	v_mad_u64_u32 v[12:13], s[14:15], s9, v33, v[12:13]
	v_mov_b32_e32 v7, v12
	;; [unrolled: 6-line block ×3, first 2 shown]
	v_lshl_add_u64 v[4:5], v[6:7], 3, v[4:5]
	global_load_dwordx2 v[22:23], v[8:9], off
	global_load_dwordx2 v[24:25], v[10:11], off
	;; [unrolled: 1-line block ×4, first 2 shown]
.LBB0_10:
	s_load_dwordx2 s[14:15], s[0:1], 0x0
	s_waitcnt vmcnt(0)
	v_pk_add_f32 v[8:9], v[18:19], v[6:7] neg_lo:[0,1] neg_hi:[0,1]
	v_add_f32_e32 v5, v18, v18
	v_mov_b32_e32 v4, v22
	v_mov_b32_e32 v10, v24
	;; [unrolled: 1-line block ×3, first 2 shown]
	v_pk_add_f32 v[20:21], v[4:5], v[10:11] neg_lo:[0,1] neg_hi:[0,1]
	v_lshlrev_b32_e32 v5, 6, v1
	v_lshlrev_b32_e32 v9, 2, v32
	v_add3_u32 v26, 0, v5, v9
	v_lshlrev_b32_e32 v5, 6, v33
	v_fma_f32 v4, v22, 2.0, -v20
	v_add3_u32 v27, 0, v5, v9
	v_cmp_gt_u32_e32 vcc, 64, v0
	v_and_b32_e32 v18, 56, v0
	ds_write2_b32 v26, v4, v20 offset1:8
	ds_write2_b32 v27, v21, v8 offset1:8
	s_waitcnt lgkmcnt(0)
	s_barrier
	s_waitcnt lgkmcnt(0)
                                        ; implicit-def: $vgpr14
                                        ; implicit-def: $vgpr10
                                        ; implicit-def: $vgpr44
                                        ; implicit-def: $vgpr13
                                        ; implicit-def: $vgpr17
	s_and_saveexec_b64 s[16:17], vcc
	s_cbranch_execz .LBB0_12
; %bb.11:
	v_lshlrev_b32_e32 v4, 2, v18
	v_add3_u32 v6, 0, v4, v9
	ds_read2st64_b32 v[4:5], v6 offset1:1
	ds_read2st64_b32 v[28:29], v6 offset0:2 offset1:3
	ds_read2st64_b32 v[14:15], v6 offset0:4 offset1:5
	;; [unrolled: 1-line block ×5, first 2 shown]
	ds_read_b32 v44, v6 offset:3072
	s_waitcnt lgkmcnt(5)
	v_mov_b32_e32 v8, v29
	v_mov_b32_e32 v20, v5
	;; [unrolled: 1-line block ×3, first 2 shown]
.LBB0_12:
	s_or_b64 exec, exec, s[16:17]
	v_pk_add_f32 v[24:25], v[22:23], v[24:25] neg_lo:[0,1] neg_hi:[0,1]
	v_add_f32_e32 v23, v23, v23
	v_mov_b32_e32 v22, v19
	v_mov_b32_e32 v24, v7
	v_pk_add_f32 v[6:7], v[22:23], v[24:25] neg_lo:[0,1] neg_hi:[0,1]
	s_waitcnt lgkmcnt(0)
	v_fma_f32 v28, v19, 2.0, -v6
	s_barrier
	ds_write2_b32 v26, v7, v25 offset1:8
	ds_write2_b32 v27, v28, v6 offset1:8
	s_waitcnt lgkmcnt(0)
	s_barrier
	s_waitcnt lgkmcnt(0)
                                        ; implicit-def: $vgpr5
                                        ; implicit-def: $vgpr19
                                        ; implicit-def: $vgpr23
                                        ; implicit-def: $vgpr27
                                        ; implicit-def: $vgpr31
	s_and_saveexec_b64 s[16:17], vcc
	s_cbranch_execz .LBB0_14
; %bb.13:
	v_lshlrev_b32_e32 v5, 2, v18
	v_add3_u32 v5, 0, v5, v9
	ds_read2st64_b32 v[24:25], v5 offset1:1
	ds_read2st64_b32 v[28:29], v5 offset0:2 offset1:3
	ds_read2st64_b32 v[30:31], v5 offset0:4 offset1:5
	;; [unrolled: 1-line block ×5, first 2 shown]
	ds_read_b32 v5, v5 offset:3072
	s_waitcnt lgkmcnt(6)
	v_mov_b32_e32 v7, v24
	s_waitcnt lgkmcnt(5)
	v_mov_b32_e32 v6, v29
.LBB0_14:
	s_or_b64 exec, exec, s[16:17]
	v_bfe_u32 v24, v0, 3, 1
	v_mul_u32_u24_e32 v29, 12, v24
	v_lshlrev_b32_e32 v29, 3, v29
	global_load_dwordx4 v[34:37], v29, s[14:15]
	global_load_dwordx4 v[46:49], v29, s[14:15] offset:16
	global_load_dwordx4 v[50:53], v29, s[14:15] offset:32
	;; [unrolled: 1-line block ×5, first 2 shown]
	s_waitcnt lgkmcnt(0)
	s_barrier
	s_waitcnt vmcnt(5)
	v_mul_f32_e32 v29, v20, v35
	v_mul_f32_e32 v41, v25, v35
	;; [unrolled: 1-line block ×4, first 2 shown]
	s_waitcnt vmcnt(4)
	v_mul_f32_e32 v35, v6, v47
	v_mul_f32_e32 v40, v8, v47
	v_fma_f32 v42, v25, v34, -v29
	v_mul_f32_e32 v29, v30, v49
	v_mul_f32_e32 v43, v14, v49
	v_fmac_f32_e32 v41, v20, v34
	v_fmac_f32_e32 v38, v21, v36
	s_waitcnt vmcnt(3)
	v_mul_f32_e32 v25, v31, v51
	v_mul_f32_e32 v45, v15, v51
	v_fma_f32 v39, v28, v36, -v37
	v_mul_f32_e32 v20, v26, v53
	v_mul_f32_e32 v47, v10, v53
	s_waitcnt vmcnt(2)
	v_mul_f32_e32 v21, v27, v55
	v_mul_f32_e32 v49, v11, v55
	;; [unrolled: 1-line block ×4, first 2 shown]
	v_fmac_f32_e32 v35, v8, v46
	s_waitcnt vmcnt(1)
	v_mul_f32_e32 v34, v23, v59
	v_mul_f32_e32 v53, v17, v59
	v_fma_f32 v36, v6, v46, -v40
	v_fmac_f32_e32 v29, v14, v48
	v_fma_f32 v30, v30, v48, -v43
	v_mul_f32_e32 v37, v18, v61
	v_mul_f32_e32 v6, v12, v61
	s_waitcnt vmcnt(0)
	v_mul_f32_e32 v40, v19, v63
	v_mul_f32_e32 v46, v13, v63
	;; [unrolled: 1-line block ×4, first 2 shown]
	v_fmac_f32_e32 v25, v15, v50
	v_fma_f32 v14, v31, v50, -v45
	v_fmac_f32_e32 v20, v10, v52
	v_fma_f32 v8, v26, v52, -v47
	;; [unrolled: 2-line block ×8, first 2 shown]
	v_lshrrev_b32_e32 v6, 4, v0
	s_and_saveexec_b64 s[16:17], vcc
	s_cbranch_execz .LBB0_16
; %bb.15:
	v_sub_f32_e32 v11, v42, v23
	v_add_f32_e32 v5, v41, v43
	v_mul_f32_e32 v12, 0xbe750f2a, v11
	s_mov_b32 s18, 0xbf788fa5
	v_sub_f32_e32 v22, v39, v18
	v_fma_f32 v13, v5, s18, -v12
	v_add_f32_e32 v19, v38, v40
	v_mul_f32_e32 v26, 0x3eedf032, v22
	s_mov_b32 s19, 0x3f62ad3f
	v_add_f32_e32 v13, v4, v13
	v_fma_f32 v27, v19, s19, -v26
	v_sub_f32_e32 v31, v36, v17
	v_add_f32_e32 v13, v27, v13
	v_add_f32_e32 v27, v35, v37
	v_mul_f32_e32 v44, 0xbf29c268, v31
	s_mov_b32 s20, 0xbf3f9e67
	v_fma_f32 v45, v27, s20, -v44
	v_sub_f32_e32 v46, v30, v16
	v_fmac_f32_e32 v12, 0xbf788fa5, v5
	v_add_f32_e32 v13, v45, v13
	v_add_f32_e32 v45, v29, v34
	v_mul_f32_e32 v47, 0x3f52af12, v46
	s_mov_b32 s21, 0x3f116cb1
	v_add_f32_e32 v12, v4, v12
	v_fmac_f32_e32 v26, 0x3f62ad3f, v19
	v_fma_f32 v48, v45, s21, -v47
	v_sub_f32_e32 v49, v14, v15
	v_add_f32_e32 v12, v26, v12
	v_fmac_f32_e32 v44, 0xbf3f9e67, v27
	v_add_f32_e32 v13, v48, v13
	v_add_f32_e32 v48, v25, v28
	v_mul_f32_e32 v50, 0xbf6f5d39, v49
	s_mov_b32 s22, 0xbeb58ec6
	v_add_f32_e32 v12, v44, v12
	v_fmac_f32_e32 v47, 0x3f116cb1, v45
	v_mul_f32_e32 v26, 0xbf29c268, v11
	v_fma_f32 v51, v48, s22, -v50
	v_sub_f32_e32 v52, v8, v10
	s_mov_b32 s23, 0x3df6dbef
	v_add_f32_e32 v12, v47, v12
	v_fmac_f32_e32 v50, 0xbeb58ec6, v48
	v_fma_f32 v44, v5, s20, -v26
	v_mul_f32_e32 v47, 0x3f7e222b, v22
	v_add_f32_e32 v13, v51, v13
	v_add_f32_e32 v51, v20, v21
	v_mul_f32_e32 v53, 0x3f7e222b, v52
	v_add_f32_e32 v12, v50, v12
	v_add_f32_e32 v44, v4, v44
	v_fma_f32 v50, v19, s23, -v47
	v_fma_f32 v54, v51, s23, -v53
	v_fmac_f32_e32 v53, 0x3df6dbef, v51
	v_add_f32_e32 v44, v50, v44
	v_mul_f32_e32 v50, 0xbf52af12, v31
	v_add_f32_e32 v12, v53, v12
	v_fma_f32 v53, v27, s21, -v50
	v_fmac_f32_e32 v26, 0xbf3f9e67, v5
	v_add_f32_e32 v44, v53, v44
	v_mul_f32_e32 v53, 0x3e750f2a, v46
	v_add_f32_e32 v26, v4, v26
	v_fmac_f32_e32 v47, 0x3df6dbef, v19
	v_add_f32_e32 v13, v54, v13
	v_fma_f32 v54, v45, s18, -v53
	v_add_f32_e32 v26, v47, v26
	v_fmac_f32_e32 v50, 0x3f116cb1, v27
	v_add_f32_e32 v44, v54, v44
	v_mul_f32_e32 v54, 0x3eedf032, v49
	v_add_f32_e32 v26, v50, v26
	v_fmac_f32_e32 v53, 0xbf788fa5, v45
	v_mul_f32_e32 v47, 0xbf6f5d39, v11
	v_fma_f32 v55, v48, s19, -v54
	v_add_f32_e32 v26, v53, v26
	v_fmac_f32_e32 v54, 0x3f62ad3f, v48
	v_fma_f32 v50, v5, s22, -v47
	v_mul_f32_e32 v53, 0x3f29c268, v22
	v_add_f32_e32 v44, v55, v44
	v_mul_f32_e32 v55, 0xbf6f5d39, v52
	v_add_f32_e32 v26, v54, v26
	v_add_f32_e32 v50, v4, v50
	v_fma_f32 v54, v19, s20, -v53
	v_fma_f32 v56, v51, s22, -v55
	v_fmac_f32_e32 v55, 0xbeb58ec6, v51
	v_add_f32_e32 v50, v54, v50
	v_mul_f32_e32 v54, 0x3eedf032, v31
	v_add_f32_e32 v26, v55, v26
	v_fma_f32 v55, v27, s19, -v54
	v_fmac_f32_e32 v47, 0xbeb58ec6, v5
	v_add_f32_e32 v50, v55, v50
	v_mul_f32_e32 v55, 0xbf7e222b, v46
	v_add_f32_e32 v47, v4, v47
	v_fmac_f32_e32 v53, 0xbf3f9e67, v19
	v_add_f32_e32 v44, v56, v44
	v_fma_f32 v56, v45, s23, -v55
	v_add_f32_e32 v47, v53, v47
	v_fmac_f32_e32 v54, 0x3f62ad3f, v27
	v_add_f32_e32 v50, v56, v50
	v_mul_f32_e32 v56, 0x3e750f2a, v49
	v_add_f32_e32 v47, v54, v47
	v_fmac_f32_e32 v55, 0x3df6dbef, v45
	v_mul_f32_e32 v53, 0xbf7e222b, v11
	v_fma_f32 v57, v48, s18, -v56
	v_add_f32_e32 v47, v55, v47
	v_fmac_f32_e32 v56, 0xbf788fa5, v48
	v_fma_f32 v54, v5, s23, -v53
	v_mul_f32_e32 v55, 0xbe750f2a, v22
	;; [unrolled: 30-line block ×3, first 2 shown]
	v_fmac_f32_e32 v55, 0x3f116cb1, v5
	v_add_f32_e32 v53, v58, v53
	v_fma_f32 v58, v19, s22, -v57
	v_add_f32_e32 v55, v4, v55
	v_fmac_f32_e32 v57, 0xbeb58ec6, v19
	v_mul_f32_e32 v11, 0xbeedf032, v11
	v_add_f32_e32 v55, v57, v55
	v_fma_f32 v57, v5, s19, -v11
	v_fmac_f32_e32 v11, 0x3f62ad3f, v5
	v_add_f32_e32 v56, v4, v56
	v_add_f32_e32 v57, v4, v57
	;; [unrolled: 1-line block ×6, first 2 shown]
	v_mul_f32_e32 v59, 0xbf29c268, v52
	v_add_f32_e32 v4, v4, v35
	v_fma_f32 v60, v51, s20, -v59
	v_fmac_f32_e32 v59, 0xbf3f9e67, v51
	v_add_f32_e32 v56, v58, v56
	v_mul_f32_e32 v58, 0xbe750f2a, v31
	v_add_f32_e32 v4, v4, v29
	v_add_f32_e32 v53, v59, v53
	v_fma_f32 v59, v27, s18, -v58
	v_add_f32_e32 v4, v4, v25
	v_add_f32_e32 v56, v59, v56
	v_mul_f32_e32 v59, 0x3f29c268, v46
	v_fmac_f32_e32 v58, 0xbf788fa5, v27
	v_mul_f32_e32 v22, 0xbf52af12, v22
	v_add_f32_e32 v4, v4, v20
	v_add_f32_e32 v54, v60, v54
	v_fma_f32 v60, v45, s20, -v59
	v_add_f32_e32 v55, v58, v55
	v_fma_f32 v58, v19, s21, -v22
	v_mul_f32_e32 v31, 0xbf7e222b, v31
	v_fmac_f32_e32 v22, 0x3f116cb1, v19
	v_add_f32_e32 v4, v4, v21
	v_add_f32_e32 v56, v60, v56
	v_mul_f32_e32 v60, 0x3f7e222b, v49
	v_add_f32_e32 v57, v58, v57
	v_fma_f32 v58, v27, s23, -v31
	v_mul_f32_e32 v46, 0xbf6f5d39, v46
	v_add_f32_e32 v5, v22, v5
	v_fmac_f32_e32 v31, 0x3df6dbef, v27
	v_add_f32_e32 v4, v4, v28
	v_fma_f32 v61, v48, s23, -v60
	v_add_f32_e32 v57, v58, v57
	v_fma_f32 v58, v45, s22, -v46
	v_mul_f32_e32 v49, 0xbf29c268, v49
	v_add_f32_e32 v5, v31, v5
	v_fmac_f32_e32 v46, 0xbeb58ec6, v45
	v_add_f32_e32 v4, v4, v34
	v_mul_u32_u24_e32 v11, 26, v6
	v_add_f32_e32 v56, v61, v56
	v_mul_f32_e32 v61, 0x3eedf032, v52
	v_fmac_f32_e32 v59, 0xbf3f9e67, v45
	v_add_f32_e32 v57, v58, v57
	v_fma_f32 v58, v48, s20, -v49
	v_mul_f32_e32 v52, 0xbe750f2a, v52
	v_add_f32_e32 v5, v46, v5
	v_fmac_f32_e32 v49, 0xbf3f9e67, v48
	v_add_f32_e32 v4, v4, v37
	v_or_b32_e32 v11, v11, v24
	v_add_f32_e32 v55, v59, v55
	v_fmac_f32_e32 v60, 0x3df6dbef, v48
	v_add_f32_e32 v57, v58, v57
	v_fma_f32 v58, v51, s18, -v52
	v_add_f32_e32 v5, v49, v5
	v_fmac_f32_e32 v52, 0xbf788fa5, v51
	v_add_f32_e32 v4, v4, v40
	v_lshlrev_b32_e32 v11, 5, v11
	v_fma_f32 v62, v51, s19, -v61
	v_add_f32_e32 v55, v60, v55
	v_fmac_f32_e32 v61, 0x3f62ad3f, v51
	v_add_f32_e32 v5, v52, v5
	v_add_f32_e32 v4, v4, v43
	v_add3_u32 v11, 0, v11, v9
	v_add_f32_e32 v56, v62, v56
	v_add_f32_e32 v55, v61, v55
	;; [unrolled: 1-line block ×3, first 2 shown]
	ds_write2_b32 v11, v4, v5 offset1:16
	ds_write2_b32 v11, v55, v53 offset0:32 offset1:48
	ds_write2_b32 v11, v47, v26 offset0:64 offset1:80
	ds_write2_b32 v11, v12, v13 offset0:96 offset1:112
	ds_write2_b32 v11, v44, v50 offset0:128 offset1:144
	ds_write2_b32 v11, v54, v56 offset0:160 offset1:176
	ds_write_b32 v11, v57 offset:768
.LBB0_16:
	s_or_b64 exec, exec, s[16:17]
	v_lshlrev_b32_e32 v4, 5, v1
	v_add3_u32 v11, 0, v4, v9
	v_add_u32_e32 v13, 0x600, v11
	v_lshlrev_b32_e32 v12, 5, v33
	s_waitcnt lgkmcnt(0)
	s_barrier
	ds_read2_b32 v[4:5], v13 offset0:32 offset1:240
	v_add3_u32 v12, 0, v12, v9
	ds_read_b32 v22, v11
	ds_read_b32 v19, v12
	s_waitcnt lgkmcnt(0)
	s_barrier
	s_and_saveexec_b64 s[16:17], vcc
	s_cbranch_execz .LBB0_18
; %bb.17:
	v_add_f32_e32 v26, v7, v42
	v_add_f32_e32 v26, v26, v39
	;; [unrolled: 1-line block ×13, first 2 shown]
	v_sub_f32_e32 v27, v41, v43
	v_mul_f32_e32 v31, 0x3f62ad3f, v23
	v_mul_f32_e32 v42, 0x3f116cb1, v23
	;; [unrolled: 1-line block ×6, first 2 shown]
	v_fmamk_f32 v41, v27, 0x3eedf032, v31
	v_fmac_f32_e32 v31, 0xbeedf032, v27
	v_fmamk_f32 v43, v27, 0x3f52af12, v42
	v_fmac_f32_e32 v42, 0xbf52af12, v27
	;; [unrolled: 2-line block ×6, first 2 shown]
	v_add_f32_e32 v18, v39, v18
	v_add_f32_e32 v41, v7, v41
	v_add_f32_e32 v31, v7, v31
	v_add_f32_e32 v43, v7, v43
	v_add_f32_e32 v42, v7, v42
	v_add_f32_e32 v45, v7, v45
	v_add_f32_e32 v44, v7, v44
	v_add_f32_e32 v47, v7, v47
	v_add_f32_e32 v46, v7, v46
	v_add_f32_e32 v49, v7, v49
	v_add_f32_e32 v48, v7, v48
	v_add_f32_e32 v50, v7, v50
	v_add_f32_e32 v7, v7, v23
	v_sub_f32_e32 v23, v38, v40
	v_mul_f32_e32 v27, 0x3f116cb1, v18
	v_fmamk_f32 v38, v23, 0x3f52af12, v27
	v_fmac_f32_e32 v27, 0xbf52af12, v23
	v_add_f32_e32 v27, v27, v31
	v_mul_f32_e32 v31, 0xbeb58ec6, v18
	v_fmamk_f32 v39, v23, 0x3f6f5d39, v31
	v_fmac_f32_e32 v31, 0xbf6f5d39, v23
	v_mul_f32_e32 v40, 0xbf788fa5, v18
	v_add_f32_e32 v38, v38, v41
	v_add_f32_e32 v31, v31, v42
	v_fmamk_f32 v41, v23, 0x3e750f2a, v40
	v_fmac_f32_e32 v40, 0xbe750f2a, v23
	v_mul_f32_e32 v42, 0xbf3f9e67, v18
	v_add_f32_e32 v39, v39, v43
	v_add_f32_e32 v40, v40, v44
	v_fmamk_f32 v43, v23, 0xbf29c268, v42
	v_fmac_f32_e32 v42, 0x3f29c268, v23
	v_mul_f32_e32 v44, 0x3df6dbef, v18
	v_mul_f32_e32 v18, 0x3f62ad3f, v18
	v_add_f32_e32 v42, v42, v46
	v_fmamk_f32 v46, v23, 0xbeedf032, v18
	v_fmac_f32_e32 v18, 0x3eedf032, v23
	v_add_f32_e32 v17, v36, v17
	v_add_f32_e32 v41, v41, v45
	v_fmamk_f32 v45, v23, 0xbf7e222b, v44
	v_fmac_f32_e32 v44, 0x3f7e222b, v23
	v_add_f32_e32 v7, v18, v7
	v_sub_f32_e32 v18, v35, v37
	v_mul_f32_e32 v23, 0x3df6dbef, v17
	v_fmamk_f32 v35, v18, 0x3f7e222b, v23
	v_fmac_f32_e32 v23, 0xbf7e222b, v18
	v_add_f32_e32 v23, v23, v27
	v_mul_f32_e32 v27, 0xbf788fa5, v17
	v_fmamk_f32 v36, v18, 0x3e750f2a, v27
	v_fmac_f32_e32 v27, 0xbe750f2a, v18
	v_add_f32_e32 v27, v27, v31
	v_mul_f32_e32 v31, 0xbeb58ec6, v17
	v_add_f32_e32 v35, v35, v38
	v_fmamk_f32 v37, v18, 0xbf6f5d39, v31
	v_fmac_f32_e32 v31, 0x3f6f5d39, v18
	v_mul_f32_e32 v38, 0x3f62ad3f, v17
	v_add_f32_e32 v36, v36, v39
	v_add_f32_e32 v31, v31, v40
	v_fmamk_f32 v39, v18, 0xbeedf032, v38
	v_fmac_f32_e32 v38, 0x3eedf032, v18
	v_mul_f32_e32 v40, 0x3f116cb1, v17
	v_mul_f32_e32 v17, 0xbf3f9e67, v17
	v_add_f32_e32 v38, v38, v42
	v_fmamk_f32 v42, v18, 0x3f29c268, v17
	v_fmac_f32_e32 v17, 0xbf29c268, v18
	v_add_f32_e32 v16, v30, v16
	v_add_f32_e32 v37, v37, v41
	v_fmamk_f32 v41, v18, 0x3f52af12, v40
	v_fmac_f32_e32 v40, 0xbf52af12, v18
	v_add_f32_e32 v7, v17, v7
	v_sub_f32_e32 v17, v29, v34
	v_mul_f32_e32 v18, 0xbeb58ec6, v16
	v_fmamk_f32 v29, v17, 0x3f6f5d39, v18
	v_fmac_f32_e32 v18, 0xbf6f5d39, v17
	v_add_f32_e32 v18, v18, v23
	v_mul_f32_e32 v23, 0xbf3f9e67, v16
	v_fmamk_f32 v30, v17, 0xbf29c268, v23
	v_fmac_f32_e32 v23, 0x3f29c268, v17
	v_add_f32_e32 v23, v23, v27
	;; [unrolled: 4-line block ×3, first 2 shown]
	v_mul_f32_e32 v31, 0x3df6dbef, v16
	v_add_f32_e32 v29, v29, v35
	v_add_f32_e32 v30, v30, v36
	v_fmamk_f32 v35, v17, 0x3f7e222b, v31
	v_fmac_f32_e32 v31, 0xbf7e222b, v17
	v_mul_f32_e32 v36, 0xbf788fa5, v16
	v_mul_f32_e32 v16, 0x3f116cb1, v16
	v_add_f32_e32 v31, v31, v38
	v_fmamk_f32 v38, v17, 0xbf52af12, v16
	v_fmac_f32_e32 v16, 0x3f52af12, v17
	v_add_f32_e32 v14, v14, v15
	v_add_f32_e32 v7, v16, v7
	v_sub_f32_e32 v15, v25, v28
	v_mul_f32_e32 v16, 0xbf3f9e67, v14
	v_add_f32_e32 v34, v34, v37
	v_fmamk_f32 v37, v17, 0xbe750f2a, v36
	v_fmac_f32_e32 v36, 0x3e750f2a, v17
	v_fmamk_f32 v17, v15, 0x3f29c268, v16
	v_fmac_f32_e32 v16, 0xbf29c268, v15
	v_add_f32_e32 v16, v16, v18
	v_mul_f32_e32 v18, 0x3df6dbef, v14
	v_fmamk_f32 v25, v15, 0xbf7e222b, v18
	v_fmac_f32_e32 v18, 0x3f7e222b, v15
	v_add_f32_e32 v18, v18, v23
	v_mul_f32_e32 v23, 0x3f116cb1, v14
	v_fmamk_f32 v28, v15, 0x3f52af12, v23
	v_fmac_f32_e32 v23, 0xbf52af12, v15
	v_add_f32_e32 v25, v25, v30
	v_add_f32_e32 v23, v23, v27
	v_mul_f32_e32 v27, 0xbf788fa5, v14
	v_mul_f32_e32 v30, 0x3f62ad3f, v14
	;; [unrolled: 1-line block ×3, first 2 shown]
	v_add_f32_e32 v28, v28, v34
	v_fmamk_f32 v34, v15, 0x3f6f5d39, v14
	v_fmac_f32_e32 v14, 0xbf6f5d39, v15
	v_add_f32_e32 v8, v8, v10
	v_add_f32_e32 v17, v17, v29
	v_fmamk_f32 v29, v15, 0xbe750f2a, v27
	v_fmac_f32_e32 v27, 0x3e750f2a, v15
	v_add_f32_e32 v7, v14, v7
	v_sub_f32_e32 v10, v20, v21
	v_mul_f32_e32 v14, 0xbf788fa5, v8
	v_add_f32_e32 v27, v27, v31
	v_fmamk_f32 v31, v15, 0xbeedf032, v30
	v_fmac_f32_e32 v30, 0x3eedf032, v15
	v_fmamk_f32 v15, v10, 0x3e750f2a, v14
	v_fmac_f32_e32 v14, 0xbe750f2a, v10
	v_add_f32_e32 v14, v14, v16
	v_mul_f32_e32 v16, 0x3f62ad3f, v8
	v_add_f32_e32 v15, v15, v17
	v_fmamk_f32 v17, v10, 0xbeedf032, v16
	v_fmac_f32_e32 v16, 0x3eedf032, v10
	v_add_f32_e32 v43, v43, v47
	v_add_f32_e32 v45, v45, v49
	;; [unrolled: 1-line block ×5, first 2 shown]
	v_mul_f32_e32 v18, 0xbf3f9e67, v8
	v_mul_u32_u24_e32 v6, 26, v6
	v_add_f32_e32 v39, v39, v43
	v_add_f32_e32 v41, v41, v45
	;; [unrolled: 1-line block ×4, first 2 shown]
	v_fmamk_f32 v20, v10, 0x3f29c268, v18
	v_fmac_f32_e32 v18, 0xbf29c268, v10
	v_mul_f32_e32 v21, 0x3f116cb1, v8
	v_or_b32_e32 v6, v6, v24
	v_add_f32_e32 v35, v35, v39
	v_add_f32_e32 v37, v37, v41
	;; [unrolled: 1-line block ×6, first 2 shown]
	v_fmamk_f32 v23, v10, 0xbf52af12, v21
	v_fmac_f32_e32 v21, 0x3f52af12, v10
	v_mul_f32_e32 v25, 0xbeb58ec6, v8
	v_mul_f32_e32 v8, 0x3df6dbef, v8
	v_lshlrev_b32_e32 v6, 5, v6
	v_add_f32_e32 v29, v29, v35
	v_add_f32_e32 v31, v31, v37
	;; [unrolled: 1-line block ×6, first 2 shown]
	v_fmamk_f32 v27, v10, 0x3f6f5d39, v25
	v_fmac_f32_e32 v25, 0xbf6f5d39, v10
	v_fmamk_f32 v28, v10, 0xbf7e222b, v8
	v_fmac_f32_e32 v8, 0x3f7e222b, v10
	v_add3_u32 v6, 0, v6, v9
	v_add_f32_e32 v23, v23, v29
	v_add_f32_e32 v27, v27, v31
	;; [unrolled: 1-line block ×5, first 2 shown]
	ds_write2_b32 v6, v26, v15 offset1:16
	ds_write2_b32 v6, v17, v20 offset0:32 offset1:48
	ds_write2_b32 v6, v23, v27 offset0:64 offset1:80
	;; [unrolled: 1-line block ×5, first 2 shown]
	ds_write_b32 v6, v14 offset:768
.LBB0_18:
	s_or_b64 exec, exec, s[16:17]
	s_movk_i32 s16, 0x4f
	v_mul_lo_u16_e32 v10, 10, v1
	v_mov_b32_e32 v6, 26
	v_mul_lo_u16_sdwa v8, v33, s16 dst_sel:DWORD dst_unused:UNUSED_PAD src0_sel:BYTE_0 src1_sel:DWORD
	v_mul_lo_u16_sdwa v6, v10, v6 dst_sel:DWORD dst_unused:UNUSED_PAD src0_sel:BYTE_1 src1_sel:DWORD
	v_lshrrev_b16_e32 v20, 11, v8
	v_sub_u16_e32 v6, v1, v6
	v_mul_lo_u16_e32 v14, 26, v20
	v_and_b32_e32 v18, 0xff, v6
	v_sub_u16_e32 v14, v33, v14
	v_lshlrev_b32_e32 v6, 3, v18
	v_and_b32_e32 v21, 0xff, v14
	s_waitcnt lgkmcnt(0)
	s_barrier
	global_load_dwordx2 v[6:7], v6, s[14:15] offset:192
	v_lshlrev_b32_e32 v14, 3, v21
	global_load_dwordx2 v[14:15], v14, s[14:15] offset:192
	ds_read2_b32 v[16:17], v13 offset0:32 offset1:240
	ds_read_b32 v23, v11
	ds_read_b32 v24, v12
	v_mov_b32_e32 v25, 52
	v_mul_u32_u24_sdwa v10, v10, v25 dst_sel:DWORD dst_unused:UNUSED_PAD src0_sel:BYTE_1 src1_sel:DWORD
	v_mul_u32_u24_e32 v20, 52, v20
	v_add_lshl_u32 v10, v10, v18, 5
	v_add_lshl_u32 v18, v20, v21, 5
	v_add3_u32 v10, 0, v10, v9
	v_add3_u32 v9, 0, v18, v9
	s_waitcnt lgkmcnt(0)
	s_barrier
	v_cmp_gt_u64_e32 vcc, s[12:13], v[2:3]
	s_or_b64 s[2:3], s[2:3], vcc
	s_waitcnt vmcnt(1)
	v_mul_f32_e32 v18, v16, v7
	v_mul_f32_e32 v7, v4, v7
	v_fmac_f32_e32 v18, v4, v6
	v_fma_f32 v4, v16, v6, -v7
	s_waitcnt vmcnt(0)
	v_mul_f32_e32 v6, v17, v15
	v_mul_f32_e32 v7, v5, v15
	v_fmac_f32_e32 v6, v5, v14
	v_sub_f32_e32 v15, v22, v18
	v_sub_f32_e32 v16, v23, v4
	v_fma_f32 v4, v17, v14, -v7
	v_sub_f32_e32 v6, v19, v6
	v_fma_f32 v5, v22, 2.0, -v15
	v_sub_f32_e32 v17, v24, v4
	v_fma_f32 v4, v19, 2.0, -v6
	ds_write2_b32 v10, v5, v15 offset1:208
	ds_write2_b32 v9, v4, v6 offset1:208
	s_waitcnt lgkmcnt(0)
	s_barrier
	ds_read2_b32 v[4:5], v13 offset0:32 offset1:240
	ds_read_b32 v7, v11
	ds_read_b32 v6, v12
	v_fma_f32 v14, v23, 2.0, -v16
	v_fma_f32 v15, v24, 2.0, -v17
	s_waitcnt lgkmcnt(0)
	s_barrier
	ds_write2_b32 v10, v14, v16 offset1:208
	ds_write2_b32 v9, v15, v17 offset1:208
	s_waitcnt lgkmcnt(0)
	s_barrier
	s_and_saveexec_b64 s[12:13], s[2:3]
	s_cbranch_execz .LBB0_20
; %bb.19:
	v_lshrrev_b16_e32 v3, 12, v8
	v_mul_lo_u16_e32 v3, 52, v3
	s_load_dwordx2 s[0:1], s[0:1], 0x8
	v_sub_u16_e32 v3, v33, v3
	v_and_b32_e32 v34, 0xff, v3
	v_lshlrev_b32_e32 v3, 3, v34
	v_and_b32_e32 v0, 0xf8, v0
	v_add_u32_e32 v35, 52, v1
	global_load_dwordx2 v[8:9], v3, s[14:15] offset:400
	global_load_dwordx2 v[14:15], v0, s[14:15] offset:400
	v_mov_b32_e32 v0, 3
	v_mul_lo_u32 v3, v2, v35
	v_lshlrev_b32_sdwa v10, v0, v3 dst_sel:DWORD dst_unused:UNUSED_PAD src0_sel:DWORD src1_sel:BYTE_0
	v_lshlrev_b32_sdwa v3, v0, v3 dst_sel:DWORD dst_unused:UNUSED_PAD src0_sel:DWORD src1_sel:BYTE_1
	v_mul_lo_u32 v13, v2, v1
	v_lshlrev_b32_sdwa v24, v0, v13 dst_sel:DWORD dst_unused:UNUSED_PAD src0_sel:DWORD src1_sel:BYTE_0
	v_lshlrev_b32_sdwa v13, v0, v13 dst_sel:DWORD dst_unused:UNUSED_PAD src0_sel:DWORD src1_sel:BYTE_1
	s_waitcnt lgkmcnt(0)
	global_load_dwordx2 v[16:17], v10, s[0:1]
	global_load_dwordx2 v[18:19], v3, s[0:1] offset:2048
	global_load_dwordx2 v[20:21], v24, s[0:1]
	global_load_dwordx2 v[22:23], v13, s[0:1] offset:2048
	v_add_u32_e32 v3, 52, v34
	v_mul_lo_u32 v3, v2, v3
	v_lshlrev_b32_sdwa v10, v0, v3 dst_sel:DWORD dst_unused:UNUSED_PAD src0_sel:DWORD src1_sel:BYTE_0
	v_lshlrev_b32_sdwa v13, v0, v3 dst_sel:DWORD dst_unused:UNUSED_PAD src0_sel:DWORD src1_sel:BYTE_1
	v_mul_lo_u32 v26, v2, v34
	global_load_dwordx2 v[2:3], v10, s[0:1]
	global_load_dwordx2 v[24:25], v13, s[0:1] offset:2048
	v_lshlrev_b32_sdwa v30, v0, v26 dst_sel:DWORD dst_unused:UNUSED_PAD src0_sel:DWORD src1_sel:BYTE_0
	v_lshlrev_b32_sdwa v0, v0, v26 dst_sel:DWORD dst_unused:UNUSED_PAD src0_sel:DWORD src1_sel:BYTE_1
	global_load_dwordx2 v[26:27], v30, s[0:1]
	global_load_dwordx2 v[28:29], v0, s[0:1] offset:2048
	v_add_u32_e32 v0, 0x600, v11
	ds_read_b32 v36, v12
	ds_read_b32 v37, v11
	ds_read2_b32 v[12:13], v0 offset0:32 offset1:240
	v_mad_u64_u32 v[10:11], s[0:1], s4, v32, 0
	v_mov_b32_e32 v0, v11
	v_mad_u64_u32 v[30:31], s[0:1], s5, v32, v[0:1]
	v_mov_b32_e32 v11, v30
	s_waitcnt vmcnt(8)
	v_mul_f32_e32 v0, v4, v15
	s_waitcnt lgkmcnt(0)
	v_mul_f32_e32 v15, v12, v15
	v_fmac_f32_e32 v15, v4, v14
	v_fma_f32 v0, v12, v14, -v0
	v_sub_f32_e32 v12, v7, v15
	v_mul_f32_e32 v4, v5, v9
	v_mul_f32_e32 v9, v13, v9
	s_waitcnt vmcnt(6)
	v_mul_f32_e32 v15, v17, v19
	v_mul_f32_e32 v19, v16, v19
	v_sub_f32_e32 v0, v37, v0
	s_waitcnt vmcnt(4)
	v_mul_f32_e32 v30, v21, v23
	v_mul_f32_e32 v23, v20, v23
	v_fma_f32 v4, v13, v8, -v4
	v_fmac_f32_e32 v9, v5, v8
	v_fma_f32 v13, v16, v18, -v15
	v_fmac_f32_e32 v19, v17, v18
	s_waitcnt vmcnt(2)
	v_mul_f32_e32 v18, v2, v25
	v_fmac_f32_e32 v23, v21, v22
	v_sub_f32_e32 v16, v36, v4
	v_mul_f32_e32 v5, v3, v25
	v_sub_f32_e32 v17, v6, v9
	v_mul_f32_e32 v21, v12, v19
	v_mul_f32_e32 v4, v0, v19
	v_fmac_f32_e32 v18, v3, v24
	v_fma_f32 v14, v37, 2.0, -v0
	v_fma_f32 v7, v7, 2.0, -v12
	v_fma_f32 v15, v20, v22, -v30
	v_fma_f32 v22, v2, v24, -v5
	v_fma_f32 v5, v0, v13, -v21
	v_fmac_f32_e32 v4, v12, v13
	v_mul_f32_e32 v0, v17, v18
	v_mad_u64_u32 v[12:13], s[0:1], s8, v1, 0
	v_fma_f32 v3, v16, v22, -v0
	v_mov_b32_e32 v0, v13
	v_mad_u64_u32 v[0:1], s[0:1], s9, v1, v[0:1]
	s_lshl_b64 s[0:1], s[6:7], 3
	s_add_u32 s0, s10, s0
	s_addc_u32 s1, s11, s1
	s_waitcnt vmcnt(0)
	v_mul_f32_e32 v9, v27, v29
	v_mul_f32_e32 v19, v7, v23
	;; [unrolled: 1-line block ×3, first 2 shown]
	v_mov_b32_e32 v13, v0
	v_lshl_add_u64 v[0:1], v[10:11], 3, s[0:1]
	v_fma_f32 v24, v26, v28, -v9
	v_fma_f32 v9, v14, v15, -v19
	v_fmac_f32_e32 v8, v7, v15
	v_lshl_add_u64 v[10:11], v[12:13], 3, v[0:1]
	global_store_dwordx2 v[10:11], v[8:9], off
	v_mad_u64_u32 v[8:9], s[0:1], s8, v35, 0
	v_mov_b32_e32 v10, v9
	v_mad_u64_u32 v[10:11], s[0:1], s9, v35, v[10:11]
	v_mov_b32_e32 v9, v10
	v_lshl_add_u64 v[8:9], v[8:9], 3, v[0:1]
	global_store_dwordx2 v[8:9], v[4:5], off
	v_sub_u32_e32 v4, v33, v34
	v_add_u32_e32 v10, v4, v33
	v_mad_u64_u32 v[4:5], s[0:1], s8, v10, 0
	v_mul_f32_e32 v20, v26, v29
	v_mov_b32_e32 v8, v5
	v_fma_f32 v23, v36, 2.0, -v16
	v_fma_f32 v25, v6, 2.0, -v17
	v_fmac_f32_e32 v20, v27, v28
	v_mad_u64_u32 v[8:9], s[0:1], s9, v10, v[8:9]
	v_mul_f32_e32 v7, v25, v20
	v_mul_f32_e32 v6, v23, v20
	v_mov_b32_e32 v5, v8
	v_fma_f32 v7, v23, v24, -v7
	v_fmac_f32_e32 v6, v25, v24
	v_lshl_add_u64 v[4:5], v[4:5], 3, v[0:1]
	global_store_dwordx2 v[4:5], v[6:7], off
	v_add_u32_e32 v7, 52, v10
	v_mad_u64_u32 v[4:5], s[0:1], s8, v7, 0
	v_mov_b32_e32 v6, v5
	v_mad_u64_u32 v[6:7], s[0:1], s9, v7, v[6:7]
	v_mul_f32_e32 v2, v16, v18
	v_mov_b32_e32 v5, v6
	v_fmac_f32_e32 v2, v17, v22
	v_lshl_add_u64 v[0:1], v[4:5], 3, v[0:1]
	global_store_dwordx2 v[0:1], v[2:3], off
.LBB0_20:
	s_endpgm
	.section	.rodata,"a",@progbits
	.p2align	6, 0x0
	.amdhsa_kernel fft_rtc_back_len104_factors_2_13_2_2_wgs_208_tpt_26_halfLds_dim2_sp_ip_CI_sbcc_twdbase8_2step_dirReg
		.amdhsa_group_segment_fixed_size 0
		.amdhsa_private_segment_fixed_size 0
		.amdhsa_kernarg_size 88
		.amdhsa_user_sgpr_count 2
		.amdhsa_user_sgpr_dispatch_ptr 0
		.amdhsa_user_sgpr_queue_ptr 0
		.amdhsa_user_sgpr_kernarg_segment_ptr 1
		.amdhsa_user_sgpr_dispatch_id 0
		.amdhsa_user_sgpr_kernarg_preload_length 0
		.amdhsa_user_sgpr_kernarg_preload_offset 0
		.amdhsa_user_sgpr_private_segment_size 0
		.amdhsa_uses_dynamic_stack 0
		.amdhsa_enable_private_segment 0
		.amdhsa_system_sgpr_workgroup_id_x 1
		.amdhsa_system_sgpr_workgroup_id_y 0
		.amdhsa_system_sgpr_workgroup_id_z 0
		.amdhsa_system_sgpr_workgroup_info 0
		.amdhsa_system_vgpr_workitem_id 0
		.amdhsa_next_free_vgpr 66
		.amdhsa_next_free_sgpr 24
		.amdhsa_accum_offset 68
		.amdhsa_reserve_vcc 1
		.amdhsa_float_round_mode_32 0
		.amdhsa_float_round_mode_16_64 0
		.amdhsa_float_denorm_mode_32 3
		.amdhsa_float_denorm_mode_16_64 3
		.amdhsa_dx10_clamp 1
		.amdhsa_ieee_mode 1
		.amdhsa_fp16_overflow 0
		.amdhsa_tg_split 0
		.amdhsa_exception_fp_ieee_invalid_op 0
		.amdhsa_exception_fp_denorm_src 0
		.amdhsa_exception_fp_ieee_div_zero 0
		.amdhsa_exception_fp_ieee_overflow 0
		.amdhsa_exception_fp_ieee_underflow 0
		.amdhsa_exception_fp_ieee_inexact 0
		.amdhsa_exception_int_div_zero 0
	.end_amdhsa_kernel
	.text
.Lfunc_end0:
	.size	fft_rtc_back_len104_factors_2_13_2_2_wgs_208_tpt_26_halfLds_dim2_sp_ip_CI_sbcc_twdbase8_2step_dirReg, .Lfunc_end0-fft_rtc_back_len104_factors_2_13_2_2_wgs_208_tpt_26_halfLds_dim2_sp_ip_CI_sbcc_twdbase8_2step_dirReg
                                        ; -- End function
	.section	.AMDGPU.csdata,"",@progbits
; Kernel info:
; codeLenInByte = 5448
; NumSgprs: 30
; NumVgprs: 66
; NumAgprs: 0
; TotalNumVgprs: 66
; ScratchSize: 0
; MemoryBound: 0
; FloatMode: 240
; IeeeMode: 1
; LDSByteSize: 0 bytes/workgroup (compile time only)
; SGPRBlocks: 3
; VGPRBlocks: 8
; NumSGPRsForWavesPerEU: 30
; NumVGPRsForWavesPerEU: 66
; AccumOffset: 68
; Occupancy: 7
; WaveLimiterHint : 1
; COMPUTE_PGM_RSRC2:SCRATCH_EN: 0
; COMPUTE_PGM_RSRC2:USER_SGPR: 2
; COMPUTE_PGM_RSRC2:TRAP_HANDLER: 0
; COMPUTE_PGM_RSRC2:TGID_X_EN: 1
; COMPUTE_PGM_RSRC2:TGID_Y_EN: 0
; COMPUTE_PGM_RSRC2:TGID_Z_EN: 0
; COMPUTE_PGM_RSRC2:TIDIG_COMP_CNT: 0
; COMPUTE_PGM_RSRC3_GFX90A:ACCUM_OFFSET: 16
; COMPUTE_PGM_RSRC3_GFX90A:TG_SPLIT: 0
	.text
	.p2alignl 6, 3212836864
	.fill 256, 4, 3212836864
	.type	__hip_cuid_f148dfc548d78f4a,@object ; @__hip_cuid_f148dfc548d78f4a
	.section	.bss,"aw",@nobits
	.globl	__hip_cuid_f148dfc548d78f4a
__hip_cuid_f148dfc548d78f4a:
	.byte	0                               ; 0x0
	.size	__hip_cuid_f148dfc548d78f4a, 1

	.ident	"AMD clang version 19.0.0git (https://github.com/RadeonOpenCompute/llvm-project roc-6.4.0 25133 c7fe45cf4b819c5991fe208aaa96edf142730f1d)"
	.section	".note.GNU-stack","",@progbits
	.addrsig
	.addrsig_sym __hip_cuid_f148dfc548d78f4a
	.amdgpu_metadata
---
amdhsa.kernels:
  - .agpr_count:     0
    .args:
      - .actual_access:  read_only
        .address_space:  global
        .offset:         0
        .size:           8
        .value_kind:     global_buffer
      - .address_space:  global
        .offset:         8
        .size:           8
        .value_kind:     global_buffer
      - .actual_access:  read_only
        .address_space:  global
        .offset:         16
        .size:           8
        .value_kind:     global_buffer
      - .actual_access:  read_only
        .address_space:  global
        .offset:         24
        .size:           8
        .value_kind:     global_buffer
      - .offset:         32
        .size:           8
        .value_kind:     by_value
      - .actual_access:  read_only
        .address_space:  global
        .offset:         40
        .size:           8
        .value_kind:     global_buffer
      - .actual_access:  read_only
        .address_space:  global
        .offset:         48
        .size:           8
        .value_kind:     global_buffer
      - .offset:         56
        .size:           4
        .value_kind:     by_value
      - .actual_access:  read_only
        .address_space:  global
        .offset:         64
        .size:           8
        .value_kind:     global_buffer
      - .actual_access:  read_only
        .address_space:  global
        .offset:         72
        .size:           8
        .value_kind:     global_buffer
      - .address_space:  global
        .offset:         80
        .size:           8
        .value_kind:     global_buffer
    .group_segment_fixed_size: 0
    .kernarg_segment_align: 8
    .kernarg_segment_size: 88
    .language:       OpenCL C
    .language_version:
      - 2
      - 0
    .max_flat_workgroup_size: 208
    .name:           fft_rtc_back_len104_factors_2_13_2_2_wgs_208_tpt_26_halfLds_dim2_sp_ip_CI_sbcc_twdbase8_2step_dirReg
    .private_segment_fixed_size: 0
    .sgpr_count:     30
    .sgpr_spill_count: 0
    .symbol:         fft_rtc_back_len104_factors_2_13_2_2_wgs_208_tpt_26_halfLds_dim2_sp_ip_CI_sbcc_twdbase8_2step_dirReg.kd
    .uniform_work_group_size: 1
    .uses_dynamic_stack: false
    .vgpr_count:     66
    .vgpr_spill_count: 0
    .wavefront_size: 64
amdhsa.target:   amdgcn-amd-amdhsa--gfx950
amdhsa.version:
  - 1
  - 2
...

	.end_amdgpu_metadata
